;; amdgpu-corpus repo=ROCm/rocm-examples kind=compiled arch=gfx1250 opt=O3
	.amdgcn_target "amdgcn-amd-amdhsa--gfx1250"
	.amdhsa_code_object_version 6
	.text
	.protected	_Z16histogram_kernelPjjjjP13__hip_texture ; -- Begin function _Z16histogram_kernelPjjjjP13__hip_texture
	.globl	_Z16histogram_kernelPjjjjP13__hip_texture
	.p2align	8
	.type	_Z16histogram_kernelPjjjjP13__hip_texture,@function
_Z16histogram_kernelPjjjjP13__hip_texture: ; @_Z16histogram_kernelPjjjjP13__hip_texture
; %bb.0:
	s_clause 0x1
	s_load_b32 s5, s[0:1], 0x2c
	s_load_b64 s[2:3], s[0:1], 0x8
	s_bfe_u32 s4, ttmp6, 0x4000c
	s_and_b32 s6, ttmp6, 15
	s_add_co_i32 s4, s4, 1
	v_and_b32_e32 v1, 0x3ff, v0
	s_mul_i32 s7, ttmp9, s4
	s_getreg_b32 s4, hwreg(HW_REG_IB_STS2, 6, 4)
	s_add_co_i32 s6, s6, s7
	s_wait_kmcnt 0x0
	s_and_b32 s5, s5, 0xffff
	s_cmp_eq_u32 s4, 0
	s_cselect_b32 s6, ttmp9, s6
	s_delay_alu instid0(SALU_CYCLE_1) | instskip(NEXT) | instid1(VALU_DEP_1)
	v_mad_u32 v1, s6, s5, v1
	v_cmp_gt_u32_e32 vcc_lo, s2, v1
	s_and_saveexec_b32 s2, vcc_lo
	s_cbranch_execz .LBB0_4
; %bb.1:
	s_add_nc_u64 s[6:7], s[0:1], 32
	s_bfe_u32 s5, ttmp6, 0x40010
	s_load_u16 s2, s[6:7], 0xe
	s_add_co_i32 s5, s5, 1
	s_wait_xcnt 0x0
	s_bfe_u32 s6, ttmp6, 0x40004
	s_mul_i32 s5, ttmp7, s5
	v_bfe_u32 v0, v0, 10, 10
	s_add_co_i32 s6, s6, s5
	s_cmp_eq_u32 s4, 0
	s_cselect_b32 s4, ttmp7, s6
	s_wait_kmcnt 0x0
	v_mad_u32 v0, s4, s2, v0
	s_delay_alu instid0(VALU_DEP_1)
	v_cmp_gt_u32_e32 vcc_lo, s3, v0
	s_and_b32 exec_lo, exec_lo, vcc_lo
	s_cbranch_execz .LBB0_4
; %bb.2:
	s_mov_b32 s2, exec_lo
	s_delay_alu instid0(SALU_CYCLE_1) | instskip(NEXT) | instid1(VALU_DEP_1)
	v_mbcnt_lo_u32_b32 v0, s2, 0
	v_cmp_eq_u32_e32 vcc_lo, 0, v0
	s_and_b32 s3, exec_lo, vcc_lo
	s_delay_alu instid0(SALU_CYCLE_1)
	s_mov_b32 exec_lo, s3
	s_cbranch_execz .LBB0_4
; %bb.3:
	s_load_b64 s[0:1], s[0:1], 0x0
	s_bcnt1_i32_b32 s2, s2
	s_delay_alu instid0(SALU_CYCLE_1)
	v_dual_mov_b32 v0, 0 :: v_dual_mov_b32 v1, s2
	s_wait_xcnt 0x0
	s_wait_kmcnt 0x0
	global_atomic_add_u32 v0, v1, s[0:1] scope:SCOPE_DEV
.LBB0_4:
	s_endpgm
	.section	.rodata,"a",@progbits
	.p2align	6, 0x0
	.amdhsa_kernel _Z16histogram_kernelPjjjjP13__hip_texture
		.amdhsa_group_segment_fixed_size 0
		.amdhsa_private_segment_fixed_size 0
		.amdhsa_kernarg_size 288
		.amdhsa_user_sgpr_count 2
		.amdhsa_user_sgpr_dispatch_ptr 0
		.amdhsa_user_sgpr_queue_ptr 0
		.amdhsa_user_sgpr_kernarg_segment_ptr 1
		.amdhsa_user_sgpr_dispatch_id 0
		.amdhsa_user_sgpr_kernarg_preload_length 0
		.amdhsa_user_sgpr_kernarg_preload_offset 0
		.amdhsa_user_sgpr_private_segment_size 0
		.amdhsa_wavefront_size32 1
		.amdhsa_uses_dynamic_stack 0
		.amdhsa_enable_private_segment 0
		.amdhsa_system_sgpr_workgroup_id_x 1
		.amdhsa_system_sgpr_workgroup_id_y 1
		.amdhsa_system_sgpr_workgroup_id_z 0
		.amdhsa_system_sgpr_workgroup_info 0
		.amdhsa_system_vgpr_workitem_id 1
		.amdhsa_next_free_vgpr 2
		.amdhsa_next_free_sgpr 8
		.amdhsa_named_barrier_count 0
		.amdhsa_reserve_vcc 1
		.amdhsa_float_round_mode_32 0
		.amdhsa_float_round_mode_16_64 0
		.amdhsa_float_denorm_mode_32 3
		.amdhsa_float_denorm_mode_16_64 3
		.amdhsa_fp16_overflow 0
		.amdhsa_memory_ordered 1
		.amdhsa_forward_progress 1
		.amdhsa_inst_pref_size 3
		.amdhsa_round_robin_scheduling 0
		.amdhsa_exception_fp_ieee_invalid_op 0
		.amdhsa_exception_fp_denorm_src 0
		.amdhsa_exception_fp_ieee_div_zero 0
		.amdhsa_exception_fp_ieee_overflow 0
		.amdhsa_exception_fp_ieee_underflow 0
		.amdhsa_exception_fp_ieee_inexact 0
		.amdhsa_exception_int_div_zero 0
	.end_amdhsa_kernel
	.text
.Lfunc_end0:
	.size	_Z16histogram_kernelPjjjjP13__hip_texture, .Lfunc_end0-_Z16histogram_kernelPjjjjP13__hip_texture
                                        ; -- End function
	.set _Z16histogram_kernelPjjjjP13__hip_texture.num_vgpr, 2
	.set _Z16histogram_kernelPjjjjP13__hip_texture.num_agpr, 0
	.set _Z16histogram_kernelPjjjjP13__hip_texture.numbered_sgpr, 8
	.set _Z16histogram_kernelPjjjjP13__hip_texture.num_named_barrier, 0
	.set _Z16histogram_kernelPjjjjP13__hip_texture.private_seg_size, 0
	.set _Z16histogram_kernelPjjjjP13__hip_texture.uses_vcc, 1
	.set _Z16histogram_kernelPjjjjP13__hip_texture.uses_flat_scratch, 0
	.set _Z16histogram_kernelPjjjjP13__hip_texture.has_dyn_sized_stack, 0
	.set _Z16histogram_kernelPjjjjP13__hip_texture.has_recursion, 0
	.set _Z16histogram_kernelPjjjjP13__hip_texture.has_indirect_call, 0
	.section	.AMDGPU.csdata,"",@progbits
; Kernel info:
; codeLenInByte = 272
; TotalNumSgprs: 10
; NumVgprs: 2
; ScratchSize: 0
; MemoryBound: 0
; FloatMode: 240
; IeeeMode: 1
; LDSByteSize: 0 bytes/workgroup (compile time only)
; SGPRBlocks: 0
; VGPRBlocks: 0
; NumSGPRsForWavesPerEU: 10
; NumVGPRsForWavesPerEU: 2
; NamedBarCnt: 0
; Occupancy: 16
; WaveLimiterHint : 0
; COMPUTE_PGM_RSRC2:SCRATCH_EN: 0
; COMPUTE_PGM_RSRC2:USER_SGPR: 2
; COMPUTE_PGM_RSRC2:TRAP_HANDLER: 0
; COMPUTE_PGM_RSRC2:TGID_X_EN: 1
; COMPUTE_PGM_RSRC2:TGID_Y_EN: 1
; COMPUTE_PGM_RSRC2:TGID_Z_EN: 0
; COMPUTE_PGM_RSRC2:TIDIG_COMP_CNT: 1
	.text
	.p2alignl 7, 3214868480
	.fill 96, 4, 3214868480
	.section	.AMDGPU.gpr_maximums,"",@progbits
	.set amdgpu.max_num_vgpr, 0
	.set amdgpu.max_num_agpr, 0
	.set amdgpu.max_num_sgpr, 0
	.text
	.type	__hip_cuid_5f1832e63b9d81f6,@object ; @__hip_cuid_5f1832e63b9d81f6
	.section	.bss,"aw",@nobits
	.globl	__hip_cuid_5f1832e63b9d81f6
__hip_cuid_5f1832e63b9d81f6:
	.byte	0                               ; 0x0
	.size	__hip_cuid_5f1832e63b9d81f6, 1

	.ident	"AMD clang version 22.0.0git (https://github.com/RadeonOpenCompute/llvm-project roc-7.2.4 26084 f58b06dce1f9c15707c5f808fd002e18c2accf7e)"
	.section	".note.GNU-stack","",@progbits
	.addrsig
	.addrsig_sym __hip_cuid_5f1832e63b9d81f6
	.amdgpu_metadata
---
amdhsa.kernels:
  - .args:
      - .address_space:  global
        .offset:         0
        .size:           8
        .value_kind:     global_buffer
      - .offset:         8
        .size:           4
        .value_kind:     by_value
      - .offset:         12
        .size:           4
        .value_kind:     by_value
      - .offset:         16
        .size:           4
        .value_kind:     by_value
      - .address_space:  global
        .offset:         24
        .size:           8
        .value_kind:     global_buffer
      - .offset:         32
        .size:           4
        .value_kind:     hidden_block_count_x
      - .offset:         36
        .size:           4
        .value_kind:     hidden_block_count_y
      - .offset:         40
        .size:           4
        .value_kind:     hidden_block_count_z
      - .offset:         44
        .size:           2
        .value_kind:     hidden_group_size_x
      - .offset:         46
        .size:           2
        .value_kind:     hidden_group_size_y
      - .offset:         48
        .size:           2
        .value_kind:     hidden_group_size_z
      - .offset:         50
        .size:           2
        .value_kind:     hidden_remainder_x
      - .offset:         52
        .size:           2
        .value_kind:     hidden_remainder_y
      - .offset:         54
        .size:           2
        .value_kind:     hidden_remainder_z
      - .offset:         72
        .size:           8
        .value_kind:     hidden_global_offset_x
      - .offset:         80
        .size:           8
        .value_kind:     hidden_global_offset_y
      - .offset:         88
        .size:           8
        .value_kind:     hidden_global_offset_z
      - .offset:         96
        .size:           2
        .value_kind:     hidden_grid_dims
    .group_segment_fixed_size: 0
    .kernarg_segment_align: 8
    .kernarg_segment_size: 288
    .language:       OpenCL C
    .language_version:
      - 2
      - 0
    .max_flat_workgroup_size: 1024
    .name:           _Z16histogram_kernelPjjjjP13__hip_texture
    .private_segment_fixed_size: 0
    .sgpr_count:     10
    .sgpr_spill_count: 0
    .symbol:         _Z16histogram_kernelPjjjjP13__hip_texture.kd
    .uniform_work_group_size: 1
    .uses_dynamic_stack: false
    .vgpr_count:     2
    .vgpr_spill_count: 0
    .wavefront_size: 32
amdhsa.target:   amdgcn-amd-amdhsa--gfx1250
amdhsa.version:
  - 1
  - 2
...

	.end_amdgpu_metadata
